;; amdgpu-corpus repo=ROCm/rocFFT kind=compiled arch=gfx1030 opt=O3
	.text
	.amdgcn_target "amdgcn-amd-amdhsa--gfx1030"
	.amdhsa_code_object_version 6
	.protected	bluestein_single_fwd_len972_dim1_sp_op_CI_CI ; -- Begin function bluestein_single_fwd_len972_dim1_sp_op_CI_CI
	.globl	bluestein_single_fwd_len972_dim1_sp_op_CI_CI
	.p2align	8
	.type	bluestein_single_fwd_len972_dim1_sp_op_CI_CI,@function
bluestein_single_fwd_len972_dim1_sp_op_CI_CI: ; @bluestein_single_fwd_len972_dim1_sp_op_CI_CI
; %bb.0:
	s_load_dwordx4 s[16:19], s[4:5], 0x28
	v_mul_u32_u24_e32 v1, 0x195, v0
	v_mov_b32_e32 v37, 0
	s_mov_b32 s0, exec_lo
	v_lshrrev_b32_e32 v1, 16, v1
	v_add_nc_u32_e32 v36, s6, v1
	s_waitcnt lgkmcnt(0)
	v_cmpx_gt_u64_e64 s[16:17], v[36:37]
	s_cbranch_execz .LBB0_2
; %bb.1:
	s_clause 0x1
	s_load_dwordx4 s[0:3], s[4:5], 0x18
	s_load_dwordx4 s[8:11], s[4:5], 0x0
	v_mul_lo_u16 v1, 0xa2, v1
	v_mov_b32_e32 v31, 3
	s_load_dwordx2 s[4:5], s[4:5], 0x38
	v_sub_nc_u16 v16, v0, v1
	v_and_b32_e32 v51, 0xffff, v16
	v_and_b32_e32 v23, 0xff, v16
	v_lshlrev_b32_e32 v52, 3, v51
	v_add_co_u32 v24, null, 0xa2, v51
	s_waitcnt lgkmcnt(0)
	s_load_dwordx4 s[12:15], s[0:1], 0x0
	s_clause 0x1
	global_load_dwordx2 v[34:35], v52, s[8:9]
	global_load_dwordx2 v[32:33], v52, s[8:9] offset:1296
	v_add_co_u32 v55, s0, s8, v52
	v_add_co_ci_u32_e64 v56, null, s9, 0, s0
	v_add_nc_u32_e32 v54, 0x800, v52
	v_add_nc_u32_e32 v53, 0x1400, v52
	s_waitcnt lgkmcnt(0)
	v_mad_u64_u32 v[0:1], null, s14, v36, 0
	v_mad_u64_u32 v[2:3], null, s12, v51, 0
	s_mul_i32 s0, s13, 0xa20
	s_mul_hi_u32 s1, s12, 0xa20
	s_mul_i32 s6, s12, 0xa20
	s_add_i32 s1, s1, s0
	s_mul_i32 s0, s13, 0xfffff0d0
	v_mad_u64_u32 v[4:5], null, s15, v36, v[1:2]
	s_sub_i32 s0, s0, s12
	v_mad_u64_u32 v[5:6], null, s13, v51, v[3:4]
	v_mov_b32_e32 v1, v4
	v_lshlrev_b64 v[0:1], 3, v[0:1]
	v_mov_b32_e32 v3, v5
	v_add_co_u32 v0, vcc_lo, s18, v0
	v_lshlrev_b64 v[2:3], 3, v[2:3]
	v_add_co_ci_u32_e32 v1, vcc_lo, s19, v1, vcc_lo
	v_add_co_u32 v0, vcc_lo, v0, v2
	v_add_co_ci_u32_e32 v1, vcc_lo, v1, v3, vcc_lo
	v_add_co_u32 v2, vcc_lo, v0, s6
	;; [unrolled: 2-line block ×5, first 2 shown]
	global_load_dwordx2 v[37:38], v[4:5], off offset:544
	global_load_dwordx2 v[0:1], v[0:1], off
	v_mad_u64_u32 v[10:11], null, 0xfffff0d0, s12, v[6:7]
	v_add_co_ci_u32_e32 v9, vcc_lo, 0, v56, vcc_lo
	v_add_co_u32 v47, vcc_lo, 0x1800, v55
	v_add_co_ci_u32_e32 v48, vcc_lo, 0, v56, vcc_lo
	v_add_nc_u32_e32 v11, s0, v11
	s_clause 0x1
	global_load_dwordx2 v[2:3], v[2:3], off
	global_load_dwordx2 v[6:7], v[6:7], off
	global_load_dwordx2 v[39:40], v[8:9], off offset:1088
	v_add_co_u32 v8, vcc_lo, v10, s6
	v_add_co_ci_u32_e32 v9, vcc_lo, s1, v11, vcc_lo
	global_load_dwordx2 v[10:11], v[10:11], off
	v_add_co_u32 v12, vcc_lo, v8, s6
	v_add_co_ci_u32_e32 v13, vcc_lo, s1, v9, vcc_lo
	global_load_dwordx2 v[41:42], v[4:5], off offset:1840
	global_load_dwordx2 v[4:5], v[8:9], off
	global_load_dwordx2 v[43:44], v[47:48], off offset:336
	global_load_dwordx2 v[8:9], v[12:13], off
	v_mul_lo_u16 v13, 0xab, v23
	s_load_dwordx4 s[0:3], s[2:3], 0x0
	v_lshrrev_b16 v17, 9, v13
	s_waitcnt lgkmcnt(0)
	s_mul_hi_u32 s7, s0, 0xa20
	s_mul_i32 s8, s0, 0xa20
	s_waitcnt vmcnt(8)
	v_mul_f32_e32 v12, v1, v35
	v_mul_f32_e32 v14, v0, v35
	v_fmac_f32_e32 v12, v0, v34
	v_fma_f32 v13, v1, v34, -v14
	s_waitcnt vmcnt(7)
	v_mul_f32_e32 v0, v3, v38
	v_mul_f32_e32 v1, v2, v38
	s_waitcnt vmcnt(5)
	v_mul_f32_e32 v14, v7, v40
	v_mul_f32_e32 v15, v6, v40
	v_fmac_f32_e32 v0, v2, v37
	v_fma_f32 v1, v3, v37, -v1
	s_waitcnt vmcnt(4)
	v_mul_f32_e32 v2, v11, v33
	v_mul_f32_e32 v3, v10, v33
	v_fmac_f32_e32 v14, v6, v39
	v_fma_f32 v15, v7, v39, -v15
	s_waitcnt vmcnt(2)
	v_mul_f32_e32 v6, v5, v42
	v_mul_f32_e32 v7, v4, v42
	v_fmac_f32_e32 v2, v10, v32
	s_waitcnt vmcnt(0)
	v_mul_f32_e32 v10, v9, v44
	v_mul_f32_e32 v18, v8, v44
	v_fma_f32 v3, v11, v32, -v3
	v_fmac_f32_e32 v6, v4, v41
	v_fma_f32 v7, v5, v41, -v7
	v_fmac_f32_e32 v10, v8, v43
	v_fma_f32 v11, v9, v43, -v18
	ds_write_b64 v52, v[0:1] offset:2592
	ds_write_b64 v52, v[14:15] offset:5184
	ds_write2_b64 v52, v[12:13], v[2:3] offset1:162
	ds_write_b64 v52, v[6:7] offset:3888
	ds_write_b64 v52, v[10:11] offset:6480
	s_waitcnt lgkmcnt(0)
	s_barrier
	buffer_gl0_inv
	ds_read2_b64 v[0:3], v52 offset1:162
	ds_read2_b64 v[4:7], v54 offset0:68 offset1:230
	ds_read2_b64 v[8:11], v53 offset0:8 offset1:170
	v_mul_lo_u16 v12, v17, 3
	v_mul_u32_u24_e32 v14, 3, v24
	v_mul_lo_u16 v13, v16, 3
	s_waitcnt lgkmcnt(0)
	s_barrier
	v_sub_nc_u16 v12, v16, v12
	v_lshlrev_b32_e32 v57, 3, v14
	v_lshlrev_b32_sdwa v58, v31, v13 dst_sel:DWORD dst_unused:UNUSED_PAD src0_sel:DWORD src1_sel:WORD_0
	buffer_gl0_inv
	v_and_b32_e32 v21, 0xff, v12
	v_mad_u64_u32 v[12:13], null, v21, 40, s[10:11]
	v_add_f32_e32 v14, v0, v4
	v_add_f32_e32 v15, v4, v8
	;; [unrolled: 1-line block ×5, first 2 shown]
	v_sub_f32_e32 v18, v5, v9
	v_add_f32_e32 v19, v1, v5
	v_sub_f32_e32 v22, v4, v8
	v_fma_f32 v0, -0.5, v15, v0
	v_fma_f32 v1, -0.5, v20, v1
	v_add_f32_e32 v25, v2, v6
	v_sub_f32_e32 v27, v7, v11
	v_add_f32_e32 v28, v3, v7
	v_sub_f32_e32 v30, v6, v10
	v_fma_f32 v2, -0.5, v26, v2
	v_fmac_f32_e32 v3, -0.5, v29
	v_add_f32_e32 v4, v14, v8
	v_add_f32_e32 v5, v19, v9
	v_fmamk_f32 v8, v18, 0x3f5db3d7, v0
	v_fmamk_f32 v9, v22, 0xbf5db3d7, v1
	v_fmac_f32_e32 v0, 0xbf5db3d7, v18
	v_fmac_f32_e32 v1, 0x3f5db3d7, v22
	v_add_f32_e32 v6, v25, v10
	v_add_f32_e32 v7, v28, v11
	v_fmamk_f32 v10, v27, 0x3f5db3d7, v2
	v_fmamk_f32 v11, v30, 0xbf5db3d7, v3
	v_fmac_f32_e32 v2, 0xbf5db3d7, v27
	v_fmac_f32_e32 v3, 0x3f5db3d7, v30
	ds_write2_b64 v58, v[4:5], v[8:9] offset1:1
	ds_write_b64 v58, v[0:1] offset:16
	ds_write2_b64 v57, v[6:7], v[10:11] offset1:1
	ds_write_b64 v57, v[2:3] offset:16
	s_waitcnt lgkmcnt(0)
	s_barrier
	buffer_gl0_inv
	s_clause 0x2
	global_load_dwordx4 v[0:3], v[12:13], off
	global_load_dwordx4 v[4:7], v[12:13], off offset:16
	global_load_dwordx2 v[45:46], v[12:13], off offset:32
	v_mov_b32_e32 v8, 0xe38f
	v_mul_lo_u16 v9, v23, 57
	v_mov_b32_e32 v18, 18
	v_mul_u32_u24_sdwa v8, v24, v8 dst_sel:DWORD dst_unused:UNUSED_PAD src0_sel:WORD_0 src1_sel:DWORD
	v_lshrrev_b16 v30, 10, v9
	v_mul_u32_u24_sdwa v26, v17, v18 dst_sel:DWORD dst_unused:UNUSED_PAD src0_sel:WORD_0 src1_sel:DWORD
	ds_read2_b64 v[17:20], v52 offset1:162
	v_lshrrev_b32_e32 v29, 20, v8
	v_mul_lo_u16 v13, v30, 18
	ds_read2_b64 v[8:11], v54 offset0:68 offset1:230
	v_add_lshl_u32 v59, v26, v21, 3
	v_mul_lo_u16 v12, v29, 18
	v_sub_nc_u16 v22, v16, v13
	v_sub_nc_u16 v49, v24, v12
	ds_read2_b64 v[12:15], v53 offset0:8 offset1:170
	v_and_b32_e32 v50, 0xff, v22
	s_waitcnt vmcnt(0) lgkmcnt(0)
	s_barrier
	v_lshlrev_b16 v25, 4, v49
	buffer_gl0_inv
	v_lshlrev_b32_e32 v24, 4, v24
	v_and_b32_e32 v22, 0xffff, v25
	v_lshlrev_b32_e32 v25, 4, v50
	v_add_co_u32 v21, s6, s10, v22
	v_add_co_ci_u32_e64 v22, null, s11, 0, s6
	v_mul_f32_e32 v27, v8, v3
	v_mul_f32_e32 v28, v11, v5
	;; [unrolled: 1-line block ×10, first 2 shown]
	v_fmac_f32_e32 v27, v9, v2
	v_fma_f32 v9, v10, v4, -v28
	v_fmac_f32_e32 v60, v11, v4
	v_fmac_f32_e32 v62, v13, v6
	v_fma_f32 v11, v14, v45, -v63
	v_fmac_f32_e32 v64, v15, v45
	v_fma_f32 v8, v8, v2, -v26
	v_fma_f32 v10, v12, v6, -v61
	;; [unrolled: 1-line block ×3, first 2 shown]
	v_fmac_f32_e32 v66, v20, v0
	v_add_f32_e32 v14, v27, v62
	v_add_f32_e32 v19, v18, v27
	v_sub_f32_e32 v20, v27, v62
	v_add_f32_e32 v27, v9, v11
	v_add_f32_e32 v28, v60, v64
	;; [unrolled: 1-line block ×4, first 2 shown]
	v_sub_f32_e32 v26, v8, v10
	v_add_f32_e32 v8, v12, v9
	v_sub_f32_e32 v61, v9, v11
	v_add_f32_e32 v9, v66, v60
	v_sub_f32_e32 v60, v60, v64
	v_fmac_f32_e32 v66, -0.5, v28
	v_fmac_f32_e32 v12, -0.5, v27
	v_fma_f32 v63, -0.5, v13, v17
	v_fma_f32 v65, -0.5, v14, v18
	v_add_f32_e32 v10, v15, v10
	v_add_f32_e32 v13, v19, v62
	;; [unrolled: 1-line block ×4, first 2 shown]
	v_fmamk_f32 v17, v61, 0xbf5db3d7, v66
	v_fmamk_f32 v18, v60, 0x3f5db3d7, v12
	v_fmac_f32_e32 v12, 0xbf5db3d7, v60
	v_fmac_f32_e32 v66, 0x3f5db3d7, v61
	v_add_f32_e32 v8, v10, v11
	v_add_f32_e32 v9, v13, v14
	v_sub_f32_e32 v10, v10, v11
	v_sub_f32_e32 v11, v13, v14
	v_mul_f32_e32 v14, 0x3f5db3d7, v17
	v_mul_f32_e32 v19, 0xbf5db3d7, v18
	v_mul_f32_e32 v27, -0.5, v12
	v_mul_f32_e32 v28, -0.5, v66
	v_fmamk_f32 v15, v20, 0x3f5db3d7, v63
	v_fmac_f32_e32 v63, 0xbf5db3d7, v20
	v_fmamk_f32 v20, v26, 0xbf5db3d7, v65
	v_fmac_f32_e32 v14, 0.5, v18
	v_fmac_f32_e32 v19, 0.5, v17
	v_fmac_f32_e32 v65, 0x3f5db3d7, v26
	v_fmac_f32_e32 v27, 0x3f5db3d7, v66
	;; [unrolled: 1-line block ×3, first 2 shown]
	v_add_f32_e32 v12, v15, v14
	v_add_f32_e32 v13, v20, v19
	v_sub_f32_e32 v14, v15, v14
	v_add_f32_e32 v17, v63, v27
	v_add_f32_e32 v18, v65, v28
	v_sub_f32_e32 v15, v20, v19
	v_sub_f32_e32 v19, v63, v27
	;; [unrolled: 1-line block ×3, first 2 shown]
	ds_write2_b64 v59, v[8:9], v[12:13] offset1:3
	ds_write2_b64 v59, v[17:18], v[10:11] offset0:6 offset1:9
	ds_write2_b64 v59, v[14:15], v[19:20] offset0:12 offset1:15
	s_waitcnt lgkmcnt(0)
	s_barrier
	buffer_gl0_inv
	s_clause 0x1
	global_load_dwordx4 v[12:15], v25, s[10:11] offset:120
	global_load_dwordx4 v[8:11], v[21:22], off offset:120
	v_mul_lo_u16 v17, v23, 19
	ds_read2_b64 v[25:28], v53 offset0:8 offset1:170
	v_mov_b32_e32 v22, 54
	ds_read2_b64 v[62:65], v52 offset1:162
	v_lshrrev_b16 v66, 10, v17
	ds_read2_b64 v[17:20], v54 offset0:68 offset1:230
	s_waitcnt vmcnt(0) lgkmcnt(0)
	s_barrier
	buffer_gl0_inv
	v_mul_lo_u16 v21, v66, 54
	v_sub_nc_u16 v16, v16, v21
	v_mul_u32_u24_sdwa v21, v30, v22 dst_sel:DWORD dst_unused:UNUSED_PAD src0_sel:WORD_0 src1_sel:DWORD
	v_and_b32_e32 v72, 0xff, v16
	v_mad_u16 v16, v29, 54, v49
	v_add_lshl_u32 v60, v21, v50, 3
	v_mad_u64_u32 v[29:30], null, v72, 40, s[10:11]
	v_lshlrev_b32_sdwa v61, v31, v16 dst_sel:DWORD dst_unused:UNUSED_PAD src0_sel:DWORD src1_sel:WORD_0
	v_mul_f32_e32 v16, v18, v13
	v_mul_f32_e32 v21, v17, v13
	;; [unrolled: 1-line block ×8, first 2 shown]
	v_fma_f32 v16, v17, v12, -v16
	v_fmac_f32_e32 v21, v18, v12
	v_fmac_f32_e32 v49, v26, v14
	v_fma_f32 v18, v25, v14, -v31
	v_fma_f32 v17, v19, v8, -v22
	v_fmac_f32_e32 v23, v20, v8
	v_fma_f32 v20, v27, v10, -v50
	v_fmac_f32_e32 v67, v28, v10
	v_add_f32_e32 v19, v63, v21
	v_sub_f32_e32 v25, v21, v49
	v_add_f32_e32 v21, v21, v49
	v_add_f32_e32 v22, v62, v16
	;; [unrolled: 1-line block ×4, first 2 shown]
	v_sub_f32_e32 v31, v23, v67
	v_add_f32_e32 v23, v23, v67
	v_add_f32_e32 v68, v17, v20
	v_sub_f32_e32 v27, v16, v18
	v_add_f32_e32 v50, v64, v17
	v_sub_f32_e32 v69, v17, v20
	v_add_f32_e32 v17, v19, v49
	v_add_f32_e32 v16, v22, v18
	v_fma_f32 v18, -0.5, v26, v62
	v_fma_f32 v19, -0.5, v21, v63
	;; [unrolled: 1-line block ×3, first 2 shown]
	v_fmac_f32_e32 v65, -0.5, v23
	v_add_f32_e32 v21, v28, v67
	v_fmamk_f32 v22, v25, 0x3f5db3d7, v18
	v_fmamk_f32 v23, v27, 0xbf5db3d7, v19
	v_fmac_f32_e32 v18, 0xbf5db3d7, v25
	v_fmac_f32_e32 v19, 0x3f5db3d7, v27
	v_add_f32_e32 v20, v50, v20
	v_fmamk_f32 v25, v31, 0x3f5db3d7, v64
	v_fmamk_f32 v26, v69, 0xbf5db3d7, v65
	v_fmac_f32_e32 v64, 0xbf5db3d7, v31
	v_fmac_f32_e32 v65, 0x3f5db3d7, v69
	ds_write2_b64 v60, v[16:17], v[22:23] offset1:18
	ds_write_b64 v60, v[18:19] offset:288
	ds_write2_b64 v61, v[20:21], v[25:26] offset1:18
	ds_write_b64 v61, v[64:65] offset:288
	s_waitcnt lgkmcnt(0)
	s_barrier
	buffer_gl0_inv
	s_clause 0x2
	global_load_dwordx4 v[16:19], v[29:30], off offset:408
	global_load_dwordx4 v[20:23], v[29:30], off offset:424
	global_load_dwordx2 v[49:50], v[29:30], off offset:440
	v_lshlrev_b32_e32 v25, 4, v51
	v_mov_b32_e32 v29, 0x144
	ds_read2_b64 v[68:71], v52 offset1:162
	v_add_co_u32 v30, s6, s10, v25
	ds_read2_b64 v[25:28], v54 offset0:68 offset1:230
	v_mul_u32_u24_sdwa v62, v66, v29 dst_sel:DWORD dst_unused:UNUSED_PAD src0_sel:WORD_0 src1_sel:DWORD
	ds_read2_b64 v[64:67], v53 offset0:8 offset1:170
	v_add_co_ci_u32_e64 v31, null, s11, 0, s6
	v_add_co_u32 v29, vcc_lo, 0x800, v30
	v_add_co_u32 v24, s6, s10, v24
	v_add_co_ci_u32_e32 v30, vcc_lo, 0, v31, vcc_lo
	v_add_co_ci_u32_e64 v31, null, s11, 0, s6
	v_add_lshl_u32 v63, v62, v72, 3
	v_add_co_u32 v72, vcc_lo, 0x800, v24
	v_add_co_ci_u32_e32 v73, vcc_lo, 0, v31, vcc_lo
	v_add_nc_u32_e32 v62, 0x400, v63
	s_waitcnt vmcnt(0) lgkmcnt(0)
	s_barrier
	buffer_gl0_inv
	s_mul_i32 s6, s1, 0xa20
	s_add_i32 s7, s7, s6
	v_mul_f32_e32 v24, v26, v19
	v_mul_f32_e32 v31, v25, v19
	;; [unrolled: 1-line block ×10, first 2 shown]
	v_fma_f32 v24, v25, v18, -v24
	v_fmac_f32_e32 v31, v26, v18
	v_fma_f32 v25, v27, v20, -v74
	v_fmac_f32_e32 v75, v28, v20
	v_fma_f32 v26, v64, v22, -v76
	v_fma_f32 v27, v66, v49, -v78
	v_fmac_f32_e32 v79, v67, v49
	v_fmac_f32_e32 v77, v65, v22
	v_fma_f32 v28, v70, v16, -v80
	v_fmac_f32_e32 v81, v71, v16
	v_add_f32_e32 v64, v24, v26
	v_add_f32_e32 v66, v68, v24
	v_sub_f32_e32 v70, v24, v26
	v_add_f32_e32 v24, v75, v79
	v_add_f32_e32 v76, v25, v27
	;; [unrolled: 1-line block ×6, first 2 shown]
	v_sub_f32_e32 v78, v25, v27
	v_sub_f32_e32 v75, v75, v79
	v_fmac_f32_e32 v81, -0.5, v24
	v_fmac_f32_e32 v28, -0.5, v76
	v_fma_f32 v80, -0.5, v64, v68
	v_add_f32_e32 v26, v66, v26
	v_add_f32_e32 v64, v67, v77
	v_add_f32_e32 v27, v74, v27
	v_add_f32_e32 v66, v71, v79
	v_fma_f32 v71, -0.5, v65, v69
	v_fmamk_f32 v65, v78, 0xbf5db3d7, v81
	v_fmamk_f32 v67, v75, 0x3f5db3d7, v28
	v_sub_f32_e32 v31, v31, v77
	v_fmac_f32_e32 v28, 0xbf5db3d7, v75
	v_fmac_f32_e32 v81, 0x3f5db3d7, v78
	v_add_f32_e32 v24, v26, v27
	v_add_f32_e32 v25, v64, v66
	v_sub_f32_e32 v26, v26, v27
	v_sub_f32_e32 v27, v64, v66
	v_mul_f32_e32 v66, 0x3f5db3d7, v65
	v_mul_f32_e32 v74, 0xbf5db3d7, v67
	v_fmamk_f32 v68, v31, 0x3f5db3d7, v80
	v_fmac_f32_e32 v80, 0xbf5db3d7, v31
	v_mul_f32_e32 v31, -0.5, v28
	v_mul_f32_e32 v75, -0.5, v81
	v_fmamk_f32 v69, v70, 0xbf5db3d7, v71
	v_fmac_f32_e32 v66, 0.5, v67
	v_fmac_f32_e32 v74, 0.5, v65
	v_fmac_f32_e32 v71, 0x3f5db3d7, v70
	v_fmac_f32_e32 v31, 0x3f5db3d7, v81
	v_fmac_f32_e32 v75, 0xbf5db3d7, v28
	v_add_f32_e32 v64, v68, v66
	v_add_f32_e32 v65, v69, v74
	v_sub_f32_e32 v66, v68, v66
	v_sub_f32_e32 v67, v69, v74
	v_add_f32_e32 v68, v80, v31
	v_add_f32_e32 v69, v71, v75
	v_sub_f32_e32 v70, v80, v31
	v_sub_f32_e32 v71, v71, v75
	ds_write2_b64 v63, v[24:25], v[64:65] offset1:54
	ds_write2_b64 v63, v[68:69], v[26:27] offset0:108 offset1:162
	ds_write2_b64 v62, v[66:67], v[70:71] offset0:88 offset1:142
	s_waitcnt lgkmcnt(0)
	s_barrier
	buffer_gl0_inv
	s_clause 0x1
	global_load_dwordx4 v[24:27], v[29:30], off offset:520
	global_load_dwordx4 v[28:31], v[72:73], off offset:520
	ds_read2_b64 v[64:67], v54 offset0:68 offset1:230
	ds_read2_b64 v[68:71], v53 offset0:8 offset1:170
	ds_read2_b64 v[72:75], v52 offset1:162
	s_waitcnt vmcnt(1) lgkmcnt(2)
	v_mul_f32_e32 v76, v65, v25
	v_mul_f32_e32 v77, v64, v25
	s_waitcnt vmcnt(0)
	v_mul_f32_e32 v78, v67, v29
	s_waitcnt lgkmcnt(1)
	v_mul_f32_e32 v80, v69, v27
	v_mul_f32_e32 v81, v68, v27
	;; [unrolled: 1-line block ×5, first 2 shown]
	v_fma_f32 v64, v64, v24, -v76
	v_fmac_f32_e32 v77, v65, v24
	v_fma_f32 v65, v66, v28, -v78
	v_fmac_f32_e32 v81, v69, v26
	;; [unrolled: 2-line block ×4, first 2 shown]
	s_waitcnt lgkmcnt(0)
	v_add_f32_e32 v67, v73, v77
	v_add_f32_e32 v69, v77, v81
	;; [unrolled: 1-line block ×5, first 2 shown]
	v_sub_f32_e32 v82, v79, v83
	v_add_f32_e32 v79, v79, v83
	v_add_f32_e32 v84, v65, v68
	v_sub_f32_e32 v76, v77, v81
	v_sub_f32_e32 v77, v64, v66
	v_add_f32_e32 v78, v74, v65
	v_sub_f32_e32 v85, v65, v68
	v_add_f32_e32 v65, v67, v81
	v_add_f32_e32 v64, v70, v66
	v_fma_f32 v66, -0.5, v71, v72
	v_fma_f32 v67, -0.5, v69, v73
	;; [unrolled: 1-line block ×3, first 2 shown]
	v_fmac_f32_e32 v75, -0.5, v79
	v_add_f32_e32 v68, v78, v68
	v_fmamk_f32 v70, v76, 0x3f5db3d7, v66
	v_fmamk_f32 v71, v77, 0xbf5db3d7, v67
	v_fmac_f32_e32 v66, 0xbf5db3d7, v76
	v_fmac_f32_e32 v67, 0x3f5db3d7, v77
	v_add_f32_e32 v69, v80, v83
	v_fmamk_f32 v72, v82, 0x3f5db3d7, v74
	v_fmac_f32_e32 v74, 0xbf5db3d7, v82
	v_fmamk_f32 v73, v85, 0xbf5db3d7, v75
	v_fmac_f32_e32 v75, 0x3f5db3d7, v85
	ds_write_b64 v52, v[70:71] offset:2592
	ds_write_b64 v52, v[66:67] offset:5184
	ds_write2_b64 v52, v[64:65], v[68:69] offset1:162
	ds_write_b64 v52, v[74:75] offset:6480
	ds_write_b64 v52, v[72:73] offset:3888
	s_waitcnt lgkmcnt(0)
	s_barrier
	buffer_gl0_inv
	global_load_dwordx2 v[47:48], v[47:48], off offset:1632
	v_add_co_u32 v64, vcc_lo, 0x1e60, v55
	v_add_co_ci_u32_e32 v65, vcc_lo, 0, v56, vcc_lo
	v_add_nc_u32_e32 v84, 0x400, v52
	v_add_nc_u32_e32 v85, 0xe00, v52
	global_load_dwordx2 v[76:77], v[64:65], off offset:1296
	v_add_co_u32 v64, vcc_lo, 0x2800, v55
	v_add_co_ci_u32_e32 v65, vcc_lo, 0, v56, vcc_lo
	v_add_co_u32 v55, vcc_lo, 0x3000, v55
	v_add_co_ci_u32_e32 v56, vcc_lo, 0, v56, vcc_lo
	s_clause 0x3
	global_load_dwordx2 v[78:79], v[64:65], off offset:128
	global_load_dwordx2 v[80:81], v[64:65], off offset:1424
	;; [unrolled: 1-line block ×4, first 2 shown]
	ds_read2_b64 v[64:67], v52 offset1:162
	s_waitcnt vmcnt(5) lgkmcnt(0)
	v_mul_f32_e32 v68, v65, v48
	v_mul_f32_e32 v69, v64, v48
	v_fma_f32 v68, v64, v47, -v68
	v_fmac_f32_e32 v69, v65, v47
	s_waitcnt vmcnt(4)
	v_mul_f32_e32 v47, v67, v77
	v_mul_f32_e32 v48, v66, v77
	ds_write_b64 v52, v[68:69]
	ds_read2_b64 v[68:71], v54 offset0:68 offset1:230
	ds_read2_b64 v[72:75], v53 offset0:8 offset1:170
	v_fma_f32 v47, v66, v76, -v47
	v_fmac_f32_e32 v48, v67, v76
	s_waitcnt vmcnt(3) lgkmcnt(1)
	v_mul_f32_e32 v64, v69, v79
	v_mul_f32_e32 v65, v68, v79
	s_waitcnt vmcnt(2)
	v_mul_f32_e32 v66, v71, v81
	v_mul_f32_e32 v67, v70, v81
	s_waitcnt vmcnt(1) lgkmcnt(0)
	v_mul_f32_e32 v76, v73, v83
	v_mul_f32_e32 v77, v72, v83
	s_waitcnt vmcnt(0)
	v_mul_f32_e32 v81, v75, v56
	v_mul_f32_e32 v79, v74, v56
	v_fma_f32 v64, v68, v78, -v64
	v_fmac_f32_e32 v65, v69, v78
	v_fma_f32 v66, v70, v80, -v66
	v_fmac_f32_e32 v67, v71, v80
	v_fma_f32 v76, v72, v82, -v76
	v_fmac_f32_e32 v77, v73, v82
	v_fma_f32 v78, v74, v55, -v81
	v_fmac_f32_e32 v79, v75, v55
	ds_write2_b64 v84, v[47:48], v[64:65] offset0:34 offset1:196
	ds_write2_b64 v85, v[66:67], v[76:77] offset0:38 offset1:200
	ds_write_b64 v52, v[78:79] offset:6480
	s_waitcnt lgkmcnt(0)
	s_barrier
	buffer_gl0_inv
	ds_read2_b64 v[64:67], v52 offset1:162
	ds_read2_b64 v[68:71], v54 offset0:68 offset1:230
	ds_read2_b64 v[72:75], v53 offset0:8 offset1:170
	s_waitcnt lgkmcnt(0)
	s_barrier
	buffer_gl0_inv
	v_add_f32_e32 v48, v65, v69
	v_add_f32_e32 v56, v68, v72
	v_sub_f32_e32 v76, v69, v73
	v_add_f32_e32 v69, v69, v73
	v_add_f32_e32 v47, v64, v68
	v_sub_f32_e32 v77, v68, v72
	v_add_f32_e32 v68, v70, v74
	v_sub_f32_e32 v78, v71, v75
	v_add_f32_e32 v79, v67, v71
	v_add_f32_e32 v71, v71, v75
	v_fma_f32 v64, -0.5, v56, v64
	v_fma_f32 v65, -0.5, v69, v65
	v_add_f32_e32 v55, v66, v70
	v_sub_f32_e32 v80, v70, v74
	v_fma_f32 v66, -0.5, v68, v66
	v_fmac_f32_e32 v67, -0.5, v71
	v_add_f32_e32 v47, v47, v72
	v_add_f32_e32 v48, v48, v73
	v_fmamk_f32 v68, v76, 0xbf5db3d7, v64
	v_fmamk_f32 v69, v77, 0x3f5db3d7, v65
	v_fmac_f32_e32 v64, 0x3f5db3d7, v76
	v_fmac_f32_e32 v65, 0xbf5db3d7, v77
	v_add_f32_e32 v55, v55, v74
	v_add_f32_e32 v56, v79, v75
	v_fmamk_f32 v70, v78, 0xbf5db3d7, v66
	v_fmamk_f32 v71, v80, 0x3f5db3d7, v67
	v_fmac_f32_e32 v66, 0x3f5db3d7, v78
	v_fmac_f32_e32 v67, 0xbf5db3d7, v80
	ds_write2_b64 v58, v[47:48], v[68:69] offset1:1
	ds_write_b64 v58, v[64:65] offset:16
	ds_write2_b64 v57, v[55:56], v[70:71] offset1:1
	ds_write_b64 v57, v[66:67] offset:16
	s_waitcnt lgkmcnt(0)
	s_barrier
	buffer_gl0_inv
	ds_read2_b64 v[55:58], v53 offset0:8 offset1:170
	ds_read2_b64 v[64:67], v54 offset0:68 offset1:230
	ds_read2_b64 v[68:71], v52 offset1:162
	s_waitcnt lgkmcnt(0)
	s_barrier
	buffer_gl0_inv
	v_mul_f32_e32 v47, v46, v58
	v_mul_f32_e32 v46, v46, v57
	;; [unrolled: 1-line block ×10, first 2 shown]
	v_fmac_f32_e32 v47, v45, v57
	v_fma_f32 v45, v45, v58, -v46
	v_fmac_f32_e32 v48, v6, v55
	v_fma_f32 v6, v6, v56, -v7
	;; [unrolled: 2-line block ×3, first 2 shown]
	v_fma_f32 v3, v4, v67, -v5
	v_fmac_f32_e32 v72, v4, v66
	v_fmac_f32_e32 v74, v0, v70
	v_fma_f32 v4, v0, v71, -v1
	v_add_f32_e32 v1, v2, v6
	v_add_f32_e32 v7, v69, v2
	v_sub_f32_e32 v55, v2, v6
	v_add_f32_e32 v2, v3, v45
	v_add_f32_e32 v5, v68, v73
	;; [unrolled: 1-line block ×5, first 2 shown]
	v_sub_f32_e32 v64, v72, v47
	v_fmac_f32_e32 v4, -0.5, v2
	v_add_f32_e32 v0, v73, v48
	v_sub_f32_e32 v65, v3, v45
	v_add_f32_e32 v3, v5, v48
	v_add_f32_e32 v5, v7, v6
	v_fmac_f32_e32 v74, -0.5, v58
	v_add_f32_e32 v2, v57, v47
	v_add_f32_e32 v6, v56, v45
	v_fmamk_f32 v7, v64, 0x3f5db3d7, v4
	v_sub_f32_e32 v46, v73, v48
	v_fma_f32 v48, -0.5, v0, v68
	v_fmac_f32_e32 v4, 0xbf5db3d7, v64
	v_fma_f32 v56, -0.5, v1, v69
	v_fmamk_f32 v45, v65, 0xbf5db3d7, v74
	v_add_f32_e32 v0, v3, v2
	v_add_f32_e32 v1, v5, v6
	v_sub_f32_e32 v2, v3, v2
	v_sub_f32_e32 v3, v5, v6
	v_mul_f32_e32 v6, 0xbf5db3d7, v7
	v_mul_f32_e32 v7, 0.5, v7
	v_fmamk_f32 v47, v55, 0xbf5db3d7, v48
	v_fmac_f32_e32 v48, 0x3f5db3d7, v55
	v_fmac_f32_e32 v74, 0x3f5db3d7, v65
	v_mul_f32_e32 v55, 0xbf5db3d7, v4
	v_mul_f32_e32 v58, -0.5, v4
	v_fmamk_f32 v57, v46, 0x3f5db3d7, v56
	v_fmac_f32_e32 v6, 0.5, v45
	v_fmac_f32_e32 v7, 0x3f5db3d7, v45
	v_fmac_f32_e32 v56, 0xbf5db3d7, v46
	v_fmac_f32_e32 v55, -0.5, v74
	v_fmac_f32_e32 v58, 0x3f5db3d7, v74
	v_add_f32_e32 v4, v47, v6
	v_add_f32_e32 v5, v57, v7
	v_sub_f32_e32 v6, v47, v6
	v_add_f32_e32 v45, v48, v55
	v_add_f32_e32 v46, v56, v58
	v_sub_f32_e32 v7, v57, v7
	v_sub_f32_e32 v47, v48, v55
	;; [unrolled: 1-line block ×3, first 2 shown]
	ds_write2_b64 v59, v[0:1], v[4:5] offset1:3
	ds_write2_b64 v59, v[45:46], v[2:3] offset0:6 offset1:9
	ds_write2_b64 v59, v[6:7], v[47:48] offset0:12 offset1:15
	s_waitcnt lgkmcnt(0)
	s_barrier
	buffer_gl0_inv
	ds_read2_b64 v[0:3], v54 offset0:68 offset1:230
	ds_read2_b64 v[4:7], v53 offset0:8 offset1:170
	ds_read2_b64 v[45:48], v52 offset1:162
	s_waitcnt lgkmcnt(0)
	s_barrier
	buffer_gl0_inv
	v_mul_f32_e32 v55, v13, v1
	v_mul_f32_e32 v13, v13, v0
	;; [unrolled: 1-line block ×8, first 2 shown]
	v_fmac_f32_e32 v55, v12, v0
	v_fma_f32 v0, v12, v1, -v13
	v_fmac_f32_e32 v56, v14, v4
	v_fma_f32 v1, v14, v5, -v15
	;; [unrolled: 2-line block ×4, first 2 shown]
	v_add_f32_e32 v3, v45, v55
	v_add_f32_e32 v4, v55, v56
	;; [unrolled: 1-line block ×5, first 2 shown]
	v_sub_f32_e32 v7, v0, v1
	v_add_f32_e32 v6, v46, v0
	v_sub_f32_e32 v9, v55, v56
	v_sub_f32_e32 v12, v2, v5
	v_add_f32_e32 v13, v48, v2
	v_add_f32_e32 v0, v3, v56
	v_fma_f32 v2, -0.5, v4, v45
	v_fma_f32 v3, -0.5, v8, v46
	v_add_f32_e32 v10, v47, v57
	v_sub_f32_e32 v15, v57, v58
	v_fma_f32 v47, -0.5, v11, v47
	v_fmac_f32_e32 v48, -0.5, v14
	v_add_f32_e32 v1, v6, v1
	v_fmamk_f32 v6, v7, 0xbf5db3d7, v2
	v_fmac_f32_e32 v2, 0x3f5db3d7, v7
	v_fmamk_f32 v7, v9, 0x3f5db3d7, v3
	v_fmac_f32_e32 v3, 0xbf5db3d7, v9
	v_add_f32_e32 v4, v10, v58
	v_add_f32_e32 v5, v13, v5
	v_fmamk_f32 v8, v12, 0xbf5db3d7, v47
	v_fmamk_f32 v9, v15, 0x3f5db3d7, v48
	v_fmac_f32_e32 v47, 0x3f5db3d7, v12
	v_fmac_f32_e32 v48, 0xbf5db3d7, v15
	ds_write2_b64 v60, v[0:1], v[6:7] offset1:18
	ds_write_b64 v60, v[2:3] offset:288
	ds_write2_b64 v61, v[4:5], v[8:9] offset1:18
	ds_write_b64 v61, v[47:48] offset:288
	s_waitcnt lgkmcnt(0)
	s_barrier
	buffer_gl0_inv
	ds_read2_b64 v[0:3], v52 offset1:162
	ds_read2_b64 v[4:7], v54 offset0:68 offset1:230
	ds_read2_b64 v[8:11], v53 offset0:8 offset1:170
	s_waitcnt lgkmcnt(0)
	s_barrier
	buffer_gl0_inv
	v_mul_f32_e32 v12, v17, v3
	v_mul_f32_e32 v13, v17, v2
	;; [unrolled: 1-line block ×10, first 2 shown]
	v_fmac_f32_e32 v12, v16, v2
	v_fma_f32 v2, v16, v3, -v13
	v_fmac_f32_e32 v14, v18, v4
	v_fmac_f32_e32 v17, v20, v6
	v_fma_f32 v4, v20, v7, -v19
	v_fma_f32 v6, v49, v11, -v46
	;; [unrolled: 1-line block ×3, first 2 shown]
	v_fmac_f32_e32 v21, v22, v8
	v_fma_f32 v5, v22, v9, -v23
	v_fmac_f32_e32 v45, v49, v10
	v_sub_f32_e32 v15, v4, v6
	v_add_f32_e32 v16, v2, v4
	v_add_f32_e32 v4, v4, v6
	;; [unrolled: 1-line block ×4, first 2 shown]
	v_sub_f32_e32 v9, v3, v5
	v_add_f32_e32 v10, v1, v3
	v_add_f32_e32 v3, v3, v5
	v_sub_f32_e32 v11, v14, v21
	v_add_f32_e32 v13, v12, v17
	v_add_f32_e32 v14, v17, v45
	v_sub_f32_e32 v17, v17, v45
	v_fmac_f32_e32 v2, -0.5, v4
	v_fma_f32 v18, -0.5, v8, v0
	v_add_f32_e32 v5, v10, v5
	v_fma_f32 v19, -0.5, v3, v1
	v_fmac_f32_e32 v12, -0.5, v14
	v_fmamk_f32 v10, v17, 0x3f5db3d7, v2
	v_fmac_f32_e32 v2, 0xbf5db3d7, v17
	v_fmamk_f32 v8, v9, 0xbf5db3d7, v18
	v_fmac_f32_e32 v18, 0x3f5db3d7, v9
	;; [unrolled: 2-line block ×3, first 2 shown]
	v_fmamk_f32 v4, v15, 0xbf5db3d7, v12
	v_mul_f32_e32 v11, 0xbf5db3d7, v10
	v_mul_f32_e32 v14, 0.5, v10
	v_add_f32_e32 v3, v13, v45
	v_fmac_f32_e32 v12, 0x3f5db3d7, v15
	v_mul_f32_e32 v13, 0xbf5db3d7, v2
	v_mul_f32_e32 v15, -0.5, v2
	v_add_f32_e32 v7, v7, v21
	v_add_f32_e32 v6, v16, v6
	v_fmac_f32_e32 v11, 0.5, v4
	v_fmac_f32_e32 v14, 0x3f5db3d7, v4
	v_fmac_f32_e32 v13, -0.5, v12
	v_fmac_f32_e32 v15, 0x3f5db3d7, v12
	v_add_f32_e32 v0, v7, v3
	v_add_f32_e32 v1, v5, v6
	v_sub_f32_e32 v2, v7, v3
	v_sub_f32_e32 v3, v5, v6
	v_add_f32_e32 v4, v8, v11
	v_add_f32_e32 v5, v9, v14
	;; [unrolled: 1-line block ×4, first 2 shown]
	v_sub_f32_e32 v8, v8, v11
	v_sub_f32_e32 v10, v18, v13
	;; [unrolled: 1-line block ×4, first 2 shown]
	ds_write2_b64 v63, v[0:1], v[4:5] offset1:54
	ds_write2_b64 v63, v[6:7], v[2:3] offset0:108 offset1:162
	ds_write2_b64 v62, v[8:9], v[10:11] offset0:88 offset1:142
	s_waitcnt lgkmcnt(0)
	s_barrier
	buffer_gl0_inv
	ds_read2_b64 v[0:3], v54 offset0:68 offset1:230
	ds_read2_b64 v[4:7], v53 offset0:8 offset1:170
	ds_read2_b64 v[8:11], v52 offset1:162
	v_mad_u64_u32 v[12:13], null, s2, v36, 0
	v_mad_u64_u32 v[14:15], null, s0, v51, 0
	s_waitcnt lgkmcnt(2)
	v_mul_f32_e32 v16, v25, v1
	v_mul_f32_e32 v17, v25, v0
	s_waitcnt lgkmcnt(1)
	v_mul_f32_e32 v18, v27, v5
	v_mul_f32_e32 v19, v27, v4
	;; [unrolled: 1-line block ×6, first 2 shown]
	v_fmac_f32_e32 v16, v24, v0
	v_fma_f32 v0, v24, v1, -v17
	v_fmac_f32_e32 v18, v26, v4
	v_fma_f32 v1, v26, v5, -v19
	;; [unrolled: 2-line block ×4, first 2 shown]
	s_waitcnt lgkmcnt(0)
	v_add_f32_e32 v3, v8, v16
	v_add_f32_e32 v4, v16, v18
	;; [unrolled: 1-line block ×5, first 2 shown]
	v_sub_f32_e32 v7, v0, v1
	v_add_f32_e32 v6, v9, v0
	v_sub_f32_e32 v16, v16, v18
	v_sub_f32_e32 v23, v2, v5
	v_add_f32_e32 v24, v11, v2
	v_add_f32_e32 v0, v3, v18
	v_fma_f32 v2, -0.5, v4, v8
	v_fma_f32 v3, -0.5, v17, v9
	v_add_f32_e32 v19, v10, v20
	v_sub_f32_e32 v20, v20, v22
	v_fma_f32 v10, -0.5, v21, v10
	v_fmac_f32_e32 v11, -0.5, v25
	v_add_f32_e32 v1, v6, v1
	v_fmamk_f32 v6, v7, 0xbf5db3d7, v2
	v_fmac_f32_e32 v2, 0x3f5db3d7, v7
	v_fmamk_f32 v7, v16, 0x3f5db3d7, v3
	v_fmac_f32_e32 v3, 0xbf5db3d7, v16
	v_add_f32_e32 v4, v19, v22
	v_add_f32_e32 v5, v24, v5
	v_fmamk_f32 v8, v23, 0xbf5db3d7, v10
	v_fmamk_f32 v9, v20, 0x3f5db3d7, v11
	v_fmac_f32_e32 v10, 0x3f5db3d7, v23
	v_fmac_f32_e32 v11, 0xbf5db3d7, v20
	ds_write_b64 v52, v[6:7] offset:2592
	ds_write_b64 v52, v[2:3] offset:5184
	ds_write2_b64 v52, v[0:1], v[4:5] offset1:162
	ds_write_b64 v52, v[8:9] offset:3888
	ds_write_b64 v52, v[10:11] offset:6480
	s_waitcnt lgkmcnt(0)
	s_barrier
	buffer_gl0_inv
	ds_read2_b64 v[0:3], v52 offset1:162
	ds_read2_b64 v[4:7], v54 offset0:68 offset1:230
	ds_read2_b64 v[8:11], v53 offset0:8 offset1:170
	v_mad_u64_u32 v[16:17], null, s3, v36, v[13:14]
	s_mov_b32 s2, 0xa88f4696
	s_mov_b32 s3, 0x3f50db20
	v_mad_u64_u32 v[17:18], null, s1, v51, v[15:16]
	v_mov_b32_e32 v13, v16
	s_mulk_i32 s1, 0xf0d0
	v_lshlrev_b64 v[12:13], 3, v[12:13]
	v_mov_b32_e32 v15, v17
	s_waitcnt lgkmcnt(2)
	v_mul_f32_e32 v16, v35, v1
	v_mul_f32_e32 v17, v35, v0
	s_waitcnt lgkmcnt(1)
	v_mul_f32_e32 v18, v38, v5
	v_mul_f32_e32 v19, v38, v4
	;; [unrolled: 3-line block ×3, first 2 shown]
	v_mul_f32_e32 v22, v33, v3
	v_mul_f32_e32 v23, v33, v2
	;; [unrolled: 1-line block ×6, first 2 shown]
	v_fmac_f32_e32 v16, v34, v0
	v_fma_f32 v17, v34, v1, -v17
	v_fmac_f32_e32 v18, v37, v4
	v_fma_f32 v19, v37, v5, -v19
	v_fmac_f32_e32 v20, v39, v8
	v_fma_f32 v21, v39, v9, -v21
	v_fmac_f32_e32 v22, v32, v2
	v_fma_f32 v23, v32, v3, -v23
	v_fmac_f32_e32 v24, v41, v6
	v_fma_f32 v25, v41, v7, -v25
	v_fmac_f32_e32 v26, v43, v10
	v_fma_f32 v27, v43, v11, -v27
	v_cvt_f64_f32_e32 v[0:1], v16
	v_cvt_f64_f32_e32 v[2:3], v17
	;; [unrolled: 1-line block ×12, first 2 shown]
	v_lshlrev_b64 v[14:15], 3, v[14:15]
	v_add_co_u32 v12, vcc_lo, s4, v12
	v_add_co_ci_u32_e32 v13, vcc_lo, s5, v13, vcc_lo
	v_add_co_u32 v12, vcc_lo, v12, v14
	v_add_co_ci_u32_e32 v13, vcc_lo, v13, v15, vcc_lo
	v_mul_f64 v[0:1], v[0:1], s[2:3]
	v_mul_f64 v[2:3], v[2:3], s[2:3]
	;; [unrolled: 1-line block ×12, first 2 shown]
	v_add_co_u32 v26, vcc_lo, v12, s8
	v_add_co_ci_u32_e32 v27, vcc_lo, s7, v13, vcc_lo
	v_add_co_u32 v28, vcc_lo, v26, s8
	v_add_co_ci_u32_e32 v29, vcc_lo, s7, v27, vcc_lo
	v_cvt_f32_f64_e32 v0, v[0:1]
	v_cvt_f32_f64_e32 v1, v[2:3]
	;; [unrolled: 1-line block ×8, first 2 shown]
	v_mad_u64_u32 v[30:31], null, 0xfffff0d0, s0, v[28:29]
	v_cvt_f32_f64_e32 v8, v[18:19]
	v_cvt_f32_f64_e32 v9, v[20:21]
	;; [unrolled: 1-line block ×4, first 2 shown]
	s_sub_i32 s0, s1, s0
	v_add_nc_u32_e32 v31, s0, v31
	v_add_co_u32 v14, vcc_lo, v30, s8
	v_add_co_ci_u32_e32 v15, vcc_lo, s7, v31, vcc_lo
	v_add_co_u32 v16, vcc_lo, v14, s8
	v_add_co_ci_u32_e32 v17, vcc_lo, s7, v15, vcc_lo
	global_store_dwordx2 v[12:13], v[0:1], off
	global_store_dwordx2 v[26:27], v[2:3], off
	;; [unrolled: 1-line block ×6, first 2 shown]
.LBB0_2:
	s_endpgm
	.section	.rodata,"a",@progbits
	.p2align	6, 0x0
	.amdhsa_kernel bluestein_single_fwd_len972_dim1_sp_op_CI_CI
		.amdhsa_group_segment_fixed_size 7776
		.amdhsa_private_segment_fixed_size 0
		.amdhsa_kernarg_size 104
		.amdhsa_user_sgpr_count 6
		.amdhsa_user_sgpr_private_segment_buffer 1
		.amdhsa_user_sgpr_dispatch_ptr 0
		.amdhsa_user_sgpr_queue_ptr 0
		.amdhsa_user_sgpr_kernarg_segment_ptr 1
		.amdhsa_user_sgpr_dispatch_id 0
		.amdhsa_user_sgpr_flat_scratch_init 0
		.amdhsa_user_sgpr_private_segment_size 0
		.amdhsa_wavefront_size32 1
		.amdhsa_uses_dynamic_stack 0
		.amdhsa_system_sgpr_private_segment_wavefront_offset 0
		.amdhsa_system_sgpr_workgroup_id_x 1
		.amdhsa_system_sgpr_workgroup_id_y 0
		.amdhsa_system_sgpr_workgroup_id_z 0
		.amdhsa_system_sgpr_workgroup_info 0
		.amdhsa_system_vgpr_workitem_id 0
		.amdhsa_next_free_vgpr 86
		.amdhsa_next_free_sgpr 20
		.amdhsa_reserve_vcc 1
		.amdhsa_reserve_flat_scratch 0
		.amdhsa_float_round_mode_32 0
		.amdhsa_float_round_mode_16_64 0
		.amdhsa_float_denorm_mode_32 3
		.amdhsa_float_denorm_mode_16_64 3
		.amdhsa_dx10_clamp 1
		.amdhsa_ieee_mode 1
		.amdhsa_fp16_overflow 0
		.amdhsa_workgroup_processor_mode 1
		.amdhsa_memory_ordered 1
		.amdhsa_forward_progress 0
		.amdhsa_shared_vgpr_count 0
		.amdhsa_exception_fp_ieee_invalid_op 0
		.amdhsa_exception_fp_denorm_src 0
		.amdhsa_exception_fp_ieee_div_zero 0
		.amdhsa_exception_fp_ieee_overflow 0
		.amdhsa_exception_fp_ieee_underflow 0
		.amdhsa_exception_fp_ieee_inexact 0
		.amdhsa_exception_int_div_zero 0
	.end_amdhsa_kernel
	.text
.Lfunc_end0:
	.size	bluestein_single_fwd_len972_dim1_sp_op_CI_CI, .Lfunc_end0-bluestein_single_fwd_len972_dim1_sp_op_CI_CI
                                        ; -- End function
	.section	.AMDGPU.csdata,"",@progbits
; Kernel info:
; codeLenInByte = 5656
; NumSgprs: 22
; NumVgprs: 86
; ScratchSize: 0
; MemoryBound: 0
; FloatMode: 240
; IeeeMode: 1
; LDSByteSize: 7776 bytes/workgroup (compile time only)
; SGPRBlocks: 2
; VGPRBlocks: 10
; NumSGPRsForWavesPerEU: 22
; NumVGPRsForWavesPerEU: 86
; Occupancy: 10
; WaveLimiterHint : 1
; COMPUTE_PGM_RSRC2:SCRATCH_EN: 0
; COMPUTE_PGM_RSRC2:USER_SGPR: 6
; COMPUTE_PGM_RSRC2:TRAP_HANDLER: 0
; COMPUTE_PGM_RSRC2:TGID_X_EN: 1
; COMPUTE_PGM_RSRC2:TGID_Y_EN: 0
; COMPUTE_PGM_RSRC2:TGID_Z_EN: 0
; COMPUTE_PGM_RSRC2:TIDIG_COMP_CNT: 0
	.text
	.p2alignl 6, 3214868480
	.fill 48, 4, 3214868480
	.type	__hip_cuid_16c68acf747682a0,@object ; @__hip_cuid_16c68acf747682a0
	.section	.bss,"aw",@nobits
	.globl	__hip_cuid_16c68acf747682a0
__hip_cuid_16c68acf747682a0:
	.byte	0                               ; 0x0
	.size	__hip_cuid_16c68acf747682a0, 1

	.ident	"AMD clang version 19.0.0git (https://github.com/RadeonOpenCompute/llvm-project roc-6.4.0 25133 c7fe45cf4b819c5991fe208aaa96edf142730f1d)"
	.section	".note.GNU-stack","",@progbits
	.addrsig
	.addrsig_sym __hip_cuid_16c68acf747682a0
	.amdgpu_metadata
---
amdhsa.kernels:
  - .args:
      - .actual_access:  read_only
        .address_space:  global
        .offset:         0
        .size:           8
        .value_kind:     global_buffer
      - .actual_access:  read_only
        .address_space:  global
        .offset:         8
        .size:           8
        .value_kind:     global_buffer
      - .actual_access:  read_only
        .address_space:  global
        .offset:         16
        .size:           8
        .value_kind:     global_buffer
      - .actual_access:  read_only
        .address_space:  global
        .offset:         24
        .size:           8
        .value_kind:     global_buffer
      - .actual_access:  read_only
        .address_space:  global
        .offset:         32
        .size:           8
        .value_kind:     global_buffer
      - .offset:         40
        .size:           8
        .value_kind:     by_value
      - .address_space:  global
        .offset:         48
        .size:           8
        .value_kind:     global_buffer
      - .address_space:  global
        .offset:         56
        .size:           8
        .value_kind:     global_buffer
      - .address_space:  global
        .offset:         64
        .size:           8
        .value_kind:     global_buffer
      - .address_space:  global
        .offset:         72
        .size:           8
        .value_kind:     global_buffer
      - .offset:         80
        .size:           4
        .value_kind:     by_value
      - .address_space:  global
        .offset:         88
        .size:           8
        .value_kind:     global_buffer
      - .address_space:  global
        .offset:         96
        .size:           8
        .value_kind:     global_buffer
    .group_segment_fixed_size: 7776
    .kernarg_segment_align: 8
    .kernarg_segment_size: 104
    .language:       OpenCL C
    .language_version:
      - 2
      - 0
    .max_flat_workgroup_size: 162
    .name:           bluestein_single_fwd_len972_dim1_sp_op_CI_CI
    .private_segment_fixed_size: 0
    .sgpr_count:     22
    .sgpr_spill_count: 0
    .symbol:         bluestein_single_fwd_len972_dim1_sp_op_CI_CI.kd
    .uniform_work_group_size: 1
    .uses_dynamic_stack: false
    .vgpr_count:     86
    .vgpr_spill_count: 0
    .wavefront_size: 32
    .workgroup_processor_mode: 1
amdhsa.target:   amdgcn-amd-amdhsa--gfx1030
amdhsa.version:
  - 1
  - 2
...

	.end_amdgpu_metadata
